;; amdgpu-corpus repo=ROCm/rocFFT kind=compiled arch=gfx1030 opt=O3
	.text
	.amdgcn_target "amdgcn-amd-amdhsa--gfx1030"
	.amdhsa_code_object_version 6
	.protected	bluestein_single_fwd_len440_dim1_sp_op_CI_CI ; -- Begin function bluestein_single_fwd_len440_dim1_sp_op_CI_CI
	.globl	bluestein_single_fwd_len440_dim1_sp_op_CI_CI
	.p2align	8
	.type	bluestein_single_fwd_len440_dim1_sp_op_CI_CI,@function
bluestein_single_fwd_len440_dim1_sp_op_CI_CI: ; @bluestein_single_fwd_len440_dim1_sp_op_CI_CI
; %bb.0:
	s_load_dwordx4 s[0:3], s[4:5], 0x28
	v_mul_u32_u24_e32 v1, 0x4a8, v0
	v_mov_b32_e32 v49, 0
	v_lshrrev_b32_e32 v1, 16, v1
	v_add_nc_u32_e32 v48, s6, v1
	s_waitcnt lgkmcnt(0)
	v_cmp_gt_u64_e32 vcc_lo, s[0:1], v[48:49]
	s_and_saveexec_b32 s0, vcc_lo
	s_cbranch_execz .LBB0_23
; %bb.1:
	v_mul_lo_u16 v1, v1, 55
	s_clause 0x1
	s_load_dwordx2 s[14:15], s[4:5], 0x0
	s_load_dwordx2 s[12:13], s[4:5], 0x38
	v_sub_nc_u16 v0, v0, v1
	v_and_b32_e32 v59, 0xffff, v0
	v_cmp_gt_u16_e32 vcc_lo, 40, v0
	v_lshlrev_b32_e32 v57, 3, v59
	v_or_b32_e32 v58, 0x140, v59
	s_and_saveexec_b32 s1, vcc_lo
	s_cbranch_execz .LBB0_3
; %bb.2:
	s_load_dwordx2 s[6:7], s[4:5], 0x18
	v_lshlrev_b32_e32 v15, 3, v58
	v_add_nc_u32_e32 v51, 0x800, v57
	s_waitcnt lgkmcnt(0)
	s_load_dwordx4 s[8:11], s[6:7], 0x0
	s_waitcnt lgkmcnt(0)
	v_mad_u64_u32 v[0:1], null, s10, v48, 0
	v_mad_u64_u32 v[2:3], null, s8, v59, 0
	s_mul_i32 s6, s9, 0x140
	s_mul_hi_u32 s7, s8, 0x140
	s_mul_i32 s10, s8, 0x140
	s_add_i32 s7, s7, s6
	v_mad_u64_u32 v[4:5], null, s11, v48, v[1:2]
	v_mad_u64_u32 v[5:6], null, s9, v59, v[3:4]
	v_mov_b32_e32 v1, v4
	s_clause 0x2
	global_load_dwordx2 v[6:7], v57, s[14:15]
	global_load_dwordx2 v[8:9], v57, s[14:15] offset:320
	global_load_dwordx2 v[15:16], v15, s[14:15]
	v_lshlrev_b64 v[0:1], 3, v[0:1]
	v_mov_b32_e32 v3, v5
	v_add_co_u32 v23, s0, s2, v0
	v_lshlrev_b64 v[2:3], 3, v[2:3]
	v_add_co_ci_u32_e64 v24, s0, s3, v1, s0
	v_mad_u64_u32 v[0:1], null, s8, v58, 0
	v_add_co_u32 v2, s0, v23, v2
	v_add_co_ci_u32_e64 v3, s0, v24, v3, s0
	v_add_co_u32 v4, s0, v2, s10
	v_add_co_ci_u32_e64 v5, s0, s7, v3, s0
	v_mad_u64_u32 v[12:13], null, s9, v58, v[1:2]
	v_add_co_u32 v10, s0, v4, s10
	v_add_co_ci_u32_e64 v11, s0, s7, v5, s0
	v_add_co_u32 v13, s0, v10, s10
	v_add_co_ci_u32_e64 v14, s0, s7, v11, s0
	v_mov_b32_e32 v1, v12
	v_add_co_u32 v17, s0, v13, s10
	v_add_co_ci_u32_e64 v18, s0, s7, v14, s0
	v_lshlrev_b64 v[0:1], 3, v[0:1]
	v_add_co_u32 v19, s0, v17, s10
	v_add_co_ci_u32_e64 v20, s0, s7, v18, s0
	v_add_co_u32 v21, s0, v19, s10
	v_add_co_ci_u32_e64 v22, s0, s7, v20, s0
	;; [unrolled: 2-line block ×3, first 2 shown]
	s_clause 0x3
	global_load_dwordx2 v[2:3], v[2:3], off
	global_load_dwordx2 v[0:1], v[0:1], off
	global_load_dwordx2 v[4:5], v[4:5], off
	global_load_dwordx2 v[10:11], v[10:11], off
	s_clause 0x2
	global_load_dwordx2 v[27:28], v57, s[14:15] offset:640
	global_load_dwordx2 v[29:30], v57, s[14:15] offset:960
	;; [unrolled: 1-line block ×3, first 2 shown]
	s_clause 0x1
	global_load_dwordx2 v[13:14], v[13:14], off
	global_load_dwordx2 v[17:18], v[17:18], off
	v_add_co_u32 v23, s0, v21, s10
	v_add_co_ci_u32_e64 v24, s0, s7, v22, s0
	v_add_co_u32 v35, s0, s14, v57
	v_add_co_ci_u32_e64 v36, null, s15, 0, s0
	v_mad_u64_u32 v[25:26], null, 0x280, s8, v[23:24]
	v_mov_b32_e32 v12, v26
	s_waitcnt vmcnt(8)
	v_mul_f32_e32 v46, v3, v7
	s_waitcnt vmcnt(6)
	v_mul_f32_e32 v49, v5, v9
	s_waitcnt vmcnt(1)
	v_mad_u64_u32 v[33:34], null, 0x280, s9, v[12:13]
	v_add_co_u32 v34, s0, 0x800, v35
	v_add_co_ci_u32_e64 v35, s0, 0, v36, s0
	global_load_dwordx2 v[19:20], v[19:20], off
	s_clause 0x2
	global_load_dwordx2 v[36:37], v57, s[14:15] offset:1600
	global_load_dwordx2 v[38:39], v57, s[14:15] offset:1920
	global_load_dwordx2 v[40:41], v[34:35], off offset:192
	global_load_dwordx2 v[21:22], v[21:22], off
	v_add_co_u32 v42, s0, v25, s10
	v_mov_b32_e32 v26, v33
	global_load_dwordx2 v[23:24], v[23:24], off
	v_mul_f32_e32 v12, v2, v7
	v_mul_f32_e32 v7, v1, v16
	;; [unrolled: 1-line block ×3, first 2 shown]
	v_add_co_ci_u32_e64 v43, s0, s7, v26, s0
	global_load_dwordx2 v[25:26], v[25:26], off
	s_clause 0x1
	global_load_dwordx2 v[44:45], v[34:35], off offset:832
	global_load_dwordx2 v[33:34], v[34:35], off offset:1152
	global_load_dwordx2 v[42:43], v[42:43], off
	v_mul_f32_e32 v16, v0, v16
	v_fmac_f32_e32 v46, v2, v6
	v_fma_f32 v47, v3, v6, -v12
	v_fmac_f32_e32 v49, v4, v8
	v_fma_f32 v50, v5, v8, -v9
	v_fma_f32 v8, v1, v15, -v16
	v_mul_f32_e32 v1, v10, v28
	v_mul_f32_e32 v5, v13, v30
	s_waitcnt vmcnt(10)
	v_mul_f32_e32 v6, v17, v32
	v_mul_f32_e32 v2, v11, v28
	v_fmac_f32_e32 v7, v0, v15
	v_mul_f32_e32 v0, v14, v30
	v_fma_f32 v3, v11, v27, -v1
	v_fma_f32 v1, v14, v29, -v5
	;; [unrolled: 1-line block ×3, first 2 shown]
	v_mul_f32_e32 v4, v18, v32
	v_fmac_f32_e32 v2, v10, v27
	v_fmac_f32_e32 v0, v13, v29
	v_add_nc_u32_e32 v35, 0x400, v57
	ds_write2_b64 v57, v[46:47], v[49:50] offset1:40
	v_fmac_f32_e32 v4, v17, v31
	s_waitcnt vmcnt(8)
	v_mul_f32_e32 v6, v19, v37
	v_mul_f32_e32 v9, v20, v37
	s_waitcnt vmcnt(5)
	v_mul_f32_e32 v11, v22, v39
	v_mul_f32_e32 v12, v21, v39
	v_fma_f32 v10, v20, v36, -v6
	v_fmac_f32_e32 v9, v19, v36
	s_waitcnt vmcnt(4)
	v_mul_f32_e32 v13, v24, v41
	v_mul_f32_e32 v6, v23, v41
	v_fmac_f32_e32 v11, v21, v38
	v_fma_f32 v12, v22, v38, -v12
	s_waitcnt vmcnt(2)
	v_mul_f32_e32 v15, v26, v45
	v_mul_f32_e32 v16, v25, v45
	s_waitcnt vmcnt(0)
	v_mul_f32_e32 v17, v43, v34
	v_mul_f32_e32 v18, v42, v34
	v_fmac_f32_e32 v13, v23, v40
	v_fma_f32 v14, v24, v40, -v6
	v_fmac_f32_e32 v15, v25, v44
	v_fma_f32 v16, v26, v44, -v16
	;; [unrolled: 2-line block ×3, first 2 shown]
	ds_write2_b64 v57, v[2:3], v[0:1] offset0:80 offset1:120
	ds_write2_b64 v57, v[4:5], v[9:10] offset0:160 offset1:200
	;; [unrolled: 1-line block ×4, first 2 shown]
	ds_write_b64 v57, v[17:18] offset:3200
.LBB0_3:
	s_or_b32 exec_lo, exec_lo, s1
	s_load_dwordx2 s[0:1], s[4:5], 0x20
	v_mov_b32_e32 v4, 0
	v_mov_b32_e32 v5, 0
	s_waitcnt lgkmcnt(0)
	s_barrier
	buffer_gl0_inv
                                        ; implicit-def: $vgpr10
                                        ; implicit-def: $vgpr0
                                        ; implicit-def: $vgpr20
                                        ; implicit-def: $vgpr14
                                        ; implicit-def: $vgpr18
	s_and_saveexec_b32 s2, vcc_lo
	s_cbranch_execz .LBB0_5
; %bb.4:
	v_add_nc_u32_e32 v0, 0x400, v57
	v_add_nc_u32_e32 v1, 0x800, v57
	ds_read2_b64 v[4:7], v57 offset1:40
	ds_read2_b64 v[16:19], v57 offset0:80 offset1:120
	ds_read2_b64 v[12:15], v57 offset0:160 offset1:200
	;; [unrolled: 1-line block ×4, first 2 shown]
	ds_read_b64 v[20:21], v57 offset:3200
.LBB0_5:
	s_or_b32 exec_lo, exec_lo, s2
	s_waitcnt lgkmcnt(0)
	v_sub_f32_e32 v43, v7, v21
	v_sub_f32_e32 v44, v6, v20
	v_add_f32_e32 v22, v20, v6
	v_add_f32_e32 v24, v21, v7
	v_sub_f32_e32 v47, v17, v3
	v_mul_f32_e32 v29, 0xbf0a6770, v43
	v_mul_f32_e32 v32, 0xbf0a6770, v44
	v_sub_f32_e32 v51, v16, v2
	v_add_f32_e32 v23, v2, v16
	v_add_f32_e32 v25, v3, v17
	v_fmamk_f32 v26, v22, 0x3f575c64, v29
	v_fma_f32 v27, 0x3f575c64, v24, -v32
	v_mul_f32_e32 v31, 0xbf68dda4, v47
	v_mul_f32_e32 v34, 0xbf68dda4, v51
	v_sub_f32_e32 v62, v19, v1
	v_add_f32_e32 v28, v26, v4
	v_add_f32_e32 v30, v27, v5
	v_fmamk_f32 v33, v23, 0x3ed4b147, v31
	v_sub_f32_e32 v63, v18, v0
	v_fma_f32 v35, 0x3ed4b147, v25, -v34
	v_add_f32_e32 v26, v0, v18
	v_mul_f32_e32 v36, 0xbf7d64f0, v62
	v_sub_f32_e32 v68, v13, v11
	v_add_f32_e32 v27, v1, v19
	v_mul_f32_e32 v37, 0xbf7d64f0, v63
	v_add_f32_e32 v33, v33, v28
	v_add_f32_e32 v35, v35, v30
	v_fmamk_f32 v30, v26, 0xbe11bafb, v36
	v_sub_f32_e32 v69, v12, v10
	v_add_f32_e32 v28, v10, v12
	v_mul_f32_e32 v38, 0xbf4178ce, v68
	v_mul_f32_e32 v40, 0xbf68dda4, v43
	v_fma_f32 v41, 0xbe11bafb, v27, -v37
	v_add_f32_e32 v45, v30, v33
	v_add_f32_e32 v30, v11, v13
	v_mul_f32_e32 v39, 0xbf4178ce, v69
	v_fmamk_f32 v49, v28, 0xbf27a4f4, v38
	v_mul_f32_e32 v66, 0xbf68dda4, v44
	v_add_f32_e32 v46, v41, v35
	v_fmamk_f32 v53, v22, 0x3ed4b147, v40
	v_fma_f32 v50, 0xbf27a4f4, v30, -v39
	v_add_f32_e32 v45, v49, v45
	v_mul_f32_e32 v52, 0xbf4178ce, v47
	v_fma_f32 v49, 0x3ed4b147, v24, -v66
	v_mul_f32_e32 v67, 0xbf4178ce, v51
	v_sub_f32_e32 v70, v15, v9
	v_add_f32_e32 v46, v50, v46
	v_add_f32_e32 v50, v53, v4
	v_fmamk_f32 v53, v23, 0xbf27a4f4, v52
	v_add_f32_e32 v49, v49, v5
	v_fma_f32 v54, 0xbf27a4f4, v25, -v67
	v_mul_f32_e32 v55, 0x3e903f40, v62
	v_mul_f32_e32 v64, 0x3e903f40, v63
	v_add_f32_e32 v33, v8, v14
	v_mul_f32_e32 v41, 0xbe903f40, v70
	v_add_f32_e32 v50, v53, v50
	v_add_f32_e32 v49, v54, v49
	v_fmamk_f32 v53, v26, 0xbf75a155, v55
	v_fma_f32 v54, 0xbf75a155, v27, -v64
	v_mul_f32_e32 v56, 0x3f7d64f0, v68
	v_fmamk_f32 v60, v33, 0xbf75a155, v41
	v_mul_f32_e32 v75, 0xbf7d64f0, v43
	v_add_f32_e32 v50, v53, v50
	v_add_f32_e32 v53, v54, v49
	v_fmamk_f32 v54, v28, 0xbe11bafb, v56
	v_mul_f32_e32 v78, 0xbf7d64f0, v44
	v_add_f32_e32 v49, v60, v45
	v_mul_f32_e32 v77, 0x3e903f40, v47
	v_mul_f32_e32 v80, 0x3e903f40, v51
	v_add_f32_e32 v45, v54, v50
	v_fmamk_f32 v50, v22, 0xbe11bafb, v75
	v_fma_f32 v54, 0xbe11bafb, v24, -v78
	v_mul_f32_e32 v65, 0x3f7d64f0, v69
	v_fmamk_f32 v60, v23, 0xbf75a155, v77
	v_fma_f32 v72, 0xbf75a155, v25, -v80
	v_add_f32_e32 v50, v50, v4
	v_add_f32_e32 v54, v54, v5
	v_mul_f32_e32 v74, 0x3f68dda4, v62
	v_mul_f32_e32 v81, 0x3f68dda4, v63
	v_sub_f32_e32 v71, v14, v8
	v_fma_f32 v61, 0xbe11bafb, v30, -v65
	v_add_f32_e32 v50, v60, v50
	v_add_f32_e32 v54, v72, v54
	v_fmamk_f32 v60, v26, 0x3ed4b147, v74
	v_fma_f32 v73, 0x3ed4b147, v27, -v81
	v_mul_f32_e32 v76, 0xbf0a6770, v68
	v_mul_f32_e32 v79, 0xbf0a6770, v69
	s_load_dwordx2 s[2:3], s[4:5], 0x8
	v_add_f32_e32 v35, v9, v15
	v_mul_f32_e32 v42, 0xbe903f40, v71
	v_add_f32_e32 v53, v61, v53
	v_mul_f32_e32 v61, 0x3f0a6770, v70
	v_mul_f32_e32 v72, 0x3f0a6770, v71
	v_add_f32_e32 v50, v60, v50
	v_add_f32_e32 v54, v73, v54
	v_fmamk_f32 v60, v28, 0x3f575c64, v76
	v_fma_f32 v85, 0x3f575c64, v30, -v79
	v_mul_f32_e32 v73, 0xbf4178ce, v70
	v_mul_f32_e32 v82, 0xbf4178ce, v71
	v_fma_f32 v83, 0xbf75a155, v35, -v42
	v_fmamk_f32 v84, v33, 0x3f575c64, v61
	v_fma_f32 v86, 0x3f575c64, v35, -v72
	v_add_f32_e32 v60, v60, v50
	v_add_f32_e32 v54, v85, v54
	v_fmamk_f32 v85, v33, 0xbf27a4f4, v73
	v_fma_f32 v87, 0xbf27a4f4, v35, -v82
	v_add_f32_e32 v50, v83, v46
	v_add_f32_e32 v45, v84, v45
	;; [unrolled: 1-line block ×5, first 2 shown]
	v_mul_lo_u16 v60, v59, 11
	s_waitcnt lgkmcnt(0)
	s_barrier
	buffer_gl0_inv
	s_and_saveexec_b32 s4, vcc_lo
	s_cbranch_execz .LBB0_7
; %bb.6:
	v_mul_f32_e32 v83, 0xbf75a155, v24
	v_mul_f32_e32 v84, 0xbe903f40, v43
	;; [unrolled: 1-line block ×5, first 2 shown]
	v_fmamk_f32 v88, v44, 0x3e903f40, v83
	v_fmamk_f32 v91, v22, 0xbf75a155, v84
	;; [unrolled: 1-line block ×4, first 2 shown]
	v_mul_f32_e32 v87, 0xbf27a4f4, v27
	v_add_f32_e32 v88, v88, v5
	v_add_f32_e32 v91, v91, v4
	v_fmamk_f32 v96, v26, 0xbf27a4f4, v90
	v_fmac_f32_e32 v83, 0xbe903f40, v44
	v_mul_f32_e32 v93, 0x3ed4b147, v30
	v_add_f32_e32 v88, v92, v88
	v_mul_f32_e32 v92, 0x3f68dda4, v68
	v_add_f32_e32 v91, v94, v91
	v_fmamk_f32 v95, v63, 0x3f4178ce, v87
	v_fma_f32 v84, 0xbf75a155, v22, -v84
	v_add_f32_e32 v83, v83, v5
	v_fmamk_f32 v94, v28, 0x3ed4b147, v92
	v_add_f32_e32 v91, v96, v91
	v_fmac_f32_e32 v86, 0x3f0a6770, v51
	v_fmamk_f32 v97, v69, 0xbf68dda4, v93
	v_add_f32_e32 v88, v95, v88
	v_add_f32_e32 v84, v84, v4
	;; [unrolled: 1-line block ×3, first 2 shown]
	v_fma_f32 v89, 0x3f575c64, v23, -v89
	v_mul_f32_e32 v94, 0xbe11bafb, v35
	v_add_f32_e32 v83, v86, v83
	v_fmac_f32_e32 v87, 0xbf4178ce, v63
	v_add_f32_e32 v88, v97, v88
	v_mul_f32_e32 v86, 0xbf7d64f0, v70
	v_add_f32_e32 v84, v89, v84
	v_fma_f32 v89, 0xbf27a4f4, v26, -v90
	v_fmamk_f32 v90, v71, 0x3f7d64f0, v94
	v_add_f32_e32 v87, v87, v83
	v_fmac_f32_e32 v93, 0x3f68dda4, v69
	v_fmamk_f32 v83, v33, 0xbe11bafb, v86
	v_add_f32_e32 v89, v89, v84
	v_add_f32_e32 v84, v90, v88
	v_fma_f32 v88, 0x3ed4b147, v28, -v92
	v_add_f32_e32 v87, v93, v87
	v_fmac_f32_e32 v94, 0xbf7d64f0, v71
	v_mul_f32_e32 v90, 0xbf4178ce, v44
	v_add_f32_e32 v83, v83, v91
	v_add_f32_e32 v88, v88, v89
	v_fma_f32 v86, 0xbe11bafb, v33, -v86
	v_mul_f32_e32 v89, 0xbf4178ce, v43
	v_add_f32_e32 v44, v94, v87
	v_fmamk_f32 v87, v24, 0xbf27a4f4, v90
	v_mul_f32_e32 v91, 0x3f7d64f0, v51
	v_add_f32_e32 v43, v86, v88
	v_fma_f32 v51, 0xbf27a4f4, v22, -v89
	v_mul_f32_e32 v47, 0x3f7d64f0, v47
	v_add_f32_e32 v86, v87, v5
	v_fmamk_f32 v87, v25, 0xbe11bafb, v91
	v_mul_f32_e32 v88, 0xbf0a6770, v63
	;; [unrolled: 6-line block ×3, first 2 shown]
	v_add_f32_e32 v51, v63, v51
	v_fma_f32 v63, 0x3f575c64, v26, -v92
	v_mul_f32_e32 v69, 0xbe903f40, v69
	v_add_f32_e32 v62, v86, v62
	v_mul_f32_e32 v86, 0xbf75a155, v25
	v_add_f32_e32 v78, v78, v93
	v_add_f32_e32 v51, v63, v51
	v_mul_f32_e32 v63, 0x3ed4b147, v27
	v_mul_f32_e32 v68, 0xbe903f40, v68
	v_add_f32_e32 v80, v80, v86
	v_add_f32_e32 v78, v78, v5
	v_mul_f32_e32 v96, 0x3ed4b147, v22
	v_add_f32_e32 v81, v81, v63
	v_mul_f32_e32 v87, 0x3ed4b147, v24
	v_fmamk_f32 v93, v30, 0xbf75a155, v69
	v_add_f32_e32 v78, v80, v78
	v_mul_f32_e32 v71, 0x3f68dda4, v71
	v_fma_f32 v86, 0xbf75a155, v28, -v68
	v_mul_f32_e32 v70, 0x3f68dda4, v70
	v_mul_f32_e32 v80, 0xbe11bafb, v22
	v_add_f32_e32 v78, v81, v78
	v_mul_f32_e32 v81, 0xbf75a155, v23
	v_add_f32_e32 v62, v93, v62
	v_fmamk_f32 v93, v35, 0x3ed4b147, v71
	v_add_f32_e32 v51, v86, v51
	v_fma_f32 v86, 0x3ed4b147, v33, -v70
	v_sub_f32_e32 v75, v80, v75
	v_mul_f32_e32 v80, 0xbf27a4f4, v23
	v_sub_f32_e32 v77, v81, v77
	v_mul_f32_e32 v81, 0xbf27a4f4, v25
	v_add_f32_e32 v66, v66, v87
	v_sub_f32_e32 v40, v96, v40
	v_add_f32_e32 v63, v93, v62
	v_add_f32_e32 v62, v86, v51
	v_mul_f32_e32 v51, 0x3f575c64, v30
	v_mul_f32_e32 v87, 0xbf75a155, v26
	v_add_f32_e32 v67, v67, v81
	v_add_f32_e32 v66, v66, v5
	v_sub_f32_e32 v52, v80, v52
	v_add_f32_e32 v40, v40, v4
	v_mul_f32_e32 v95, 0x3f575c64, v24
	v_add_f32_e32 v51, v79, v51
	v_mul_f32_e32 v79, 0xbf27a4f4, v35
	;; [unrolled: 2-line block ×3, first 2 shown]
	v_add_f32_e32 v40, v52, v40
	v_sub_f32_e32 v55, v87, v55
	v_add_f32_e32 v7, v7, v5
	v_mul_f32_e32 v86, 0x3ed4b147, v25
	v_add_f32_e32 v75, v75, v4
	v_add_f32_e32 v79, v82, v79
	v_mul_f32_e32 v82, 0x3ed4b147, v26
	v_add_f32_e32 v40, v55, v40
	v_sub_f32_e32 v55, v67, v56
	v_add_f32_e32 v56, v32, v95
	v_add_f32_e32 v7, v17, v7
	;; [unrolled: 1-line block ×3, first 2 shown]
	v_mul_f32_e32 v77, 0xbe11bafb, v27
	v_sub_f32_e32 v74, v82, v74
	v_mul_f32_e32 v82, 0x3f575c64, v28
	v_add_f32_e32 v40, v55, v40
	v_add_f32_e32 v55, v56, v5
	;; [unrolled: 1-line block ×5, first 2 shown]
	v_sub_f32_e32 v76, v82, v76
	v_mul_f32_e32 v82, 0xbf27a4f4, v30
	v_add_f32_e32 v17, v34, v55
	v_add_f32_e32 v34, v37, v77
	;; [unrolled: 1-line block ×4, first 2 shown]
	v_mul_f32_e32 v80, 0xbf75a155, v35
	v_mul_f32_e32 v85, 0x3f575c64, v22
	v_add_f32_e32 v16, v34, v17
	v_add_f32_e32 v17, v39, v82
	;; [unrolled: 1-line block ×5, first 2 shown]
	v_mul_f32_e32 v94, 0x3ed4b147, v23
	v_add_f32_e32 v16, v17, v16
	v_add_f32_e32 v6, v12, v6
	;; [unrolled: 1-line block ×3, first 2 shown]
	v_sub_f32_e32 v29, v85, v29
	v_fmac_f32_e32 v89, 0xbf27a4f4, v22
	v_add_f32_e32 v7, v15, v16
	v_add_f32_e32 v14, v14, v6
	v_fma_f32 v15, 0xbf27a4f4, v24, -v90
	v_add_f32_e32 v9, v11, v9
	v_add_f32_e32 v51, v51, v78
	v_mul_f32_e32 v78, 0xbe11bafb, v26
	v_add_f32_e32 v29, v29, v4
	v_sub_f32_e32 v31, v94, v31
	v_add_f32_e32 v8, v8, v14
	v_add_f32_e32 v5, v15, v5
	v_fma_f32 v11, 0xbe11bafb, v25, -v91
	v_mul_f32_e32 v81, 0xbf75a155, v27
	v_add_f32_e32 v1, v1, v9
	v_add_f32_e32 v4, v89, v4
	v_fmac_f32_e32 v47, 0xbe11bafb, v23
	v_add_f32_e32 v74, v74, v75
	v_mul_f32_e32 v75, 0xbf27a4f4, v28
	v_add_f32_e32 v29, v31, v29
	v_sub_f32_e32 v19, v78, v36
	v_add_f32_e32 v8, v10, v8
	v_add_f32_e32 v5, v11, v5
	v_fma_f32 v9, 0x3f575c64, v27, -v88
	v_mul_f32_e32 v93, 0xbe11bafb, v30
	v_add_f32_e32 v64, v64, v81
	v_add_f32_e32 v1, v3, v1
	;; [unrolled: 1-line block ×3, first 2 shown]
	v_fmac_f32_e32 v92, 0x3f575c64, v26
	v_mul_f32_e32 v81, 0xbf75a155, v33
	v_add_f32_e32 v13, v19, v29
	v_sub_f32_e32 v18, v75, v38
	v_add_f32_e32 v0, v0, v8
	v_add_f32_e32 v4, v9, v5
	v_fma_f32 v5, 0xbf75a155, v30, -v69
	v_add_f32_e32 v64, v64, v66
	v_mul_f32_e32 v66, 0x3f575c64, v33
	v_add_f32_e32 v65, v65, v93
	v_mul_f32_e32 v93, 0xbf27a4f4, v33
	v_mul_f32_e32 v52, 0x3f575c64, v35
	v_add_f32_e32 v3, v92, v3
	v_fmac_f32_e32 v68, 0xbf75a155, v28
	v_add_f32_e32 v12, v18, v13
	v_sub_f32_e32 v13, v81, v41
	v_add_f32_e32 v0, v2, v0
	v_add_f32_e32 v2, v5, v4
	v_mov_b32_e32 v4, 3
	v_add_f32_e32 v74, v76, v74
	v_sub_f32_e32 v73, v93, v73
	v_add_f32_e32 v64, v65, v64
	v_add_f32_e32 v65, v72, v52
	v_sub_f32_e32 v56, v66, v61
	v_fma_f32 v5, 0x3ed4b147, v35, -v71
	v_add_f32_e32 v8, v68, v3
	v_fmac_f32_e32 v70, 0x3ed4b147, v33
	v_add_f32_e32 v6, v13, v12
	v_add_f32_e32 v1, v21, v1
	;; [unrolled: 1-line block ×3, first 2 shown]
	v_lshlrev_b32_sdwa v4, v4, v60 dst_sel:DWORD dst_unused:UNUSED_PAD src0_sel:DWORD src1_sel:WORD_0
	v_add_f32_e32 v52, v79, v51
	v_add_f32_e32 v51, v73, v74
	;; [unrolled: 1-line block ×6, first 2 shown]
	ds_write2_b64 v4, v[0:1], v[6:7] offset1:1
	ds_write2_b64 v4, v[31:32], v[51:52] offset0:2 offset1:3
	ds_write2_b64 v4, v[62:63], v[43:44] offset0:4 offset1:5
	;; [unrolled: 1-line block ×4, first 2 shown]
	ds_write_b64 v4, v[49:50] offset:80
.LBB0_7:
	s_or_b32 exec_lo, exec_lo, s4
	v_and_b32_e32 v0, 0xff, v59
	s_load_dwordx4 s[4:7], s[0:1], 0x0
	s_waitcnt lgkmcnt(0)
	s_barrier
	buffer_gl0_inv
	v_mul_lo_u16 v0, 0x75, v0
	v_add_nc_u32_e32 v62, 0x400, v57
	v_add_nc_u32_e32 v24, 0x800, v57
	v_mov_b32_e32 v30, 0x58
	v_cmp_gt_u16_e64 s0, 33, v59
	v_lshrrev_b16 v0, 8, v0
	v_sub_nc_u16 v1, v59, v0
	v_lshrrev_b16 v1, 1, v1
	v_and_b32_e32 v1, 0x7f, v1
	v_add_nc_u16 v0, v1, v0
	v_lshrrev_b16 v28, 3, v0
	v_mul_lo_u16 v0, v28, 11
	v_mul_u32_u24_sdwa v28, v28, v30 dst_sel:DWORD dst_unused:UNUSED_PAD src0_sel:WORD_0 src1_sel:DWORD
	v_sub_nc_u16 v0, v59, v0
	v_and_b32_e32 v29, 0xff, v0
	v_mad_u64_u32 v[0:1], null, v29, 56, s[2:3]
	v_add_lshl_u32 v61, v28, v29, 3
	s_clause 0x3
	global_load_dwordx4 v[16:19], v[0:1], off
	global_load_dwordx4 v[12:15], v[0:1], off offset:16
	global_load_dwordx4 v[8:11], v[0:1], off offset:32
	global_load_dwordx2 v[51:52], v[0:1], off offset:48
	ds_read2_b64 v[0:3], v57 offset1:55
	ds_read2_b64 v[4:7], v57 offset0:110 offset1:165
	ds_read2_b64 v[20:23], v62 offset0:92 offset1:147
	;; [unrolled: 1-line block ×3, first 2 shown]
	s_waitcnt vmcnt(0) lgkmcnt(0)
	s_barrier
	buffer_gl0_inv
	v_mul_f32_e32 v28, v3, v17
	v_mul_f32_e32 v29, v2, v17
	;; [unrolled: 1-line block ×14, first 2 shown]
	v_fma_f32 v2, v2, v16, -v28
	v_fmac_f32_e32 v29, v3, v16
	v_fma_f32 v3, v4, v18, -v30
	v_fmac_f32_e32 v31, v5, v18
	;; [unrolled: 2-line block ×7, first 2 shown]
	v_sub_f32_e32 v5, v0, v5
	v_sub_f32_e32 v21, v1, v35
	;; [unrolled: 1-line block ×8, first 2 shown]
	v_fma_f32 v0, v0, 2.0, -v5
	v_fma_f32 v1, v1, 2.0, -v21
	;; [unrolled: 1-line block ×8, first 2 shown]
	v_sub_f32_e32 v22, v5, v22
	v_add_f32_e32 v7, v21, v7
	v_sub_f32_e32 v24, v6, v24
	v_add_f32_e32 v20, v23, v20
	v_sub_f32_e32 v3, v0, v3
	v_sub_f32_e32 v25, v1, v25
	v_fma_f32 v34, v5, 2.0, -v22
	v_fma_f32 v21, v21, 2.0, -v7
	v_sub_f32_e32 v4, v2, v4
	v_sub_f32_e32 v5, v26, v27
	v_fma_f32 v6, v6, 2.0, -v24
	v_fma_f32 v23, v23, 2.0, -v20
	v_fmamk_f32 v32, v24, 0x3f3504f3, v22
	v_fmamk_f32 v33, v20, 0x3f3504f3, v7
	v_fma_f32 v27, v0, 2.0, -v3
	v_fma_f32 v35, v1, 2.0, -v25
	;; [unrolled: 1-line block ×4, first 2 shown]
	v_fmamk_f32 v28, v6, 0xbf3504f3, v34
	v_fmamk_f32 v29, v23, 0xbf3504f3, v21
	v_sub_f32_e32 v30, v3, v5
	v_add_f32_e32 v31, v25, v4
	v_fmac_f32_e32 v32, 0xbf3504f3, v20
	v_fmac_f32_e32 v33, 0x3f3504f3, v24
	v_sub_f32_e32 v0, v27, v0
	v_sub_f32_e32 v1, v35, v1
	v_fmac_f32_e32 v28, 0xbf3504f3, v23
	v_fmac_f32_e32 v29, 0x3f3504f3, v6
	v_fma_f32 v2, v3, 2.0, -v30
	v_fma_f32 v3, v25, 2.0, -v31
	;; [unrolled: 1-line block ×8, first 2 shown]
	ds_write2_b64 v61, v[30:31], v[32:33] offset0:66 offset1:77
	ds_write2_b64 v61, v[2:3], v[4:5] offset0:22 offset1:33
	;; [unrolled: 1-line block ×3, first 2 shown]
	ds_write2_b64 v61, v[6:7], v[20:21] offset1:11
	s_waitcnt lgkmcnt(0)
	s_barrier
	buffer_gl0_inv
	ds_read2_b64 v[37:40], v57 offset1:88
	ds_read2_b64 v[41:44], v62 offset0:48 offset1:136
	ds_read_b64 v[55:56], v57 offset:2816
	s_and_saveexec_b32 s1, s0
	s_cbranch_execz .LBB0_9
; %bb.8:
	ds_read2_b64 v[32:35], v62 offset0:103 offset1:191
	ds_read2_b64 v[28:31], v57 offset0:55 offset1:143
	ds_read_b64 v[45:46], v57 offset:3256
	s_waitcnt lgkmcnt(2)
	v_mov_b32_e32 v53, v34
	v_mov_b32_e32 v54, v35
.LBB0_9:
	s_or_b32 exec_lo, exec_lo, s1
	v_lshlrev_b32_e32 v0, 5, v59
	s_clause 0x1
	global_load_dwordx4 v[24:27], v0, s[2:3] offset:616
	global_load_dwordx4 v[20:23], v0, s[2:3] offset:632
	v_add_co_u32 v0, s1, v59, 55
	v_add_co_ci_u32_e64 v1, null, 0, 0, s1
	v_add_co_u32 v2, s1, 0xffffffdf, v59
	v_add_co_ci_u32_e64 v3, null, 0, -1, s1
	v_cndmask_b32_e64 v0, v2, v0, s0
	v_cndmask_b32_e64 v1, v3, v1, s0
	v_lshlrev_b64 v[0:1], 5, v[0:1]
	v_add_co_u32 v0, s1, s2, v0
	v_add_co_ci_u32_e64 v1, s1, s3, v1, s1
	s_clause 0x1
	global_load_dwordx4 v[4:7], v[0:1], off offset:616
	global_load_dwordx4 v[0:3], v[0:1], off offset:632
	s_waitcnt vmcnt(3) lgkmcnt(2)
	v_mul_f32_e32 v34, v40, v25
	v_mul_f32_e32 v35, v39, v25
	s_waitcnt lgkmcnt(1)
	v_mul_f32_e32 v36, v42, v27
	v_mul_f32_e32 v47, v41, v27
	s_waitcnt vmcnt(2)
	v_mul_f32_e32 v63, v44, v21
	v_mul_f32_e32 v64, v43, v21
	s_waitcnt lgkmcnt(0)
	v_mul_f32_e32 v65, v56, v23
	v_mul_f32_e32 v66, v55, v23
	v_fma_f32 v34, v39, v24, -v34
	v_fmac_f32_e32 v35, v40, v24
	v_fma_f32 v36, v41, v26, -v36
	v_fmac_f32_e32 v47, v42, v26
	;; [unrolled: 2-line block ×3, first 2 shown]
	v_fmac_f32_e32 v64, v44, v20
	v_fma_f32 v44, v55, v22, -v65
	v_add_f32_e32 v40, v37, v34
	v_add_f32_e32 v41, v36, v39
	v_sub_f32_e32 v55, v35, v66
	v_sub_f32_e32 v42, v34, v36
	;; [unrolled: 1-line block ×3, first 2 shown]
	v_add_f32_e32 v63, v34, v44
	v_sub_f32_e32 v65, v36, v34
	v_sub_f32_e32 v67, v39, v44
	v_add_f32_e32 v68, v38, v35
	v_add_f32_e32 v69, v47, v64
	v_sub_f32_e32 v70, v34, v44
	v_sub_f32_e32 v34, v35, v47
	;; [unrolled: 1-line block ×3, first 2 shown]
	v_add_f32_e32 v73, v35, v66
	v_sub_f32_e32 v35, v47, v35
	v_sub_f32_e32 v74, v64, v66
	v_sub_f32_e32 v56, v47, v64
	v_sub_f32_e32 v71, v36, v39
	v_add_f32_e32 v40, v40, v36
	v_fma_f32 v36, -0.5, v41, v37
	v_add_f32_e32 v75, v42, v43
	v_fma_f32 v42, -0.5, v63, v37
	v_add_f32_e32 v63, v65, v67
	v_add_f32_e32 v41, v68, v47
	v_fma_f32 v37, -0.5, v69, v38
	v_add_f32_e32 v47, v34, v72
	v_fma_f32 v43, -0.5, v73, v38
	v_add_f32_e32 v38, v35, v74
	s_waitcnt vmcnt(1)
	v_mul_f32_e32 v65, v31, v5
	v_mul_f32_e32 v67, v30, v5
	;; [unrolled: 1-line block ×4, first 2 shown]
	s_waitcnt vmcnt(0)
	v_mul_f32_e32 v72, v54, v1
	v_mul_f32_e32 v73, v53, v1
	;; [unrolled: 1-line block ×4, first 2 shown]
	v_add_f32_e32 v39, v40, v39
	v_add_f32_e32 v64, v41, v64
	v_fmamk_f32 v41, v71, 0x3f737871, v43
	v_fmac_f32_e32 v43, 0xbf737871, v71
	v_fma_f32 v30, v30, v4, -v65
	v_fmac_f32_e32 v67, v31, v4
	v_fma_f32 v31, v32, v6, -v68
	;; [unrolled: 2-line block ×4, first 2 shown]
	v_fmac_f32_e32 v76, v46, v2
	v_fmamk_f32 v34, v55, 0x3f737871, v36
	v_fmac_f32_e32 v36, 0xbf737871, v55
	v_fmamk_f32 v40, v56, 0xbf737871, v42
	v_fmac_f32_e32 v42, 0x3f737871, v56
	v_fmamk_f32 v35, v70, 0xbf737871, v37
	v_fmac_f32_e32 v37, 0x3f737871, v70
	v_add_f32_e32 v32, v39, v44
	v_add_f32_e32 v33, v64, v66
	v_fmac_f32_e32 v41, 0xbf167918, v70
	v_fmac_f32_e32 v43, 0x3f167918, v70
	v_add_f32_e32 v39, v28, v30
	v_add_f32_e32 v44, v31, v53
	;; [unrolled: 1-line block ×5, first 2 shown]
	v_fmac_f32_e32 v34, 0x3f167918, v56
	v_fmac_f32_e32 v36, 0xbf167918, v56
	;; [unrolled: 1-line block ×6, first 2 shown]
	v_sub_f32_e32 v55, v67, v76
	v_sub_f32_e32 v56, v69, v73
	;; [unrolled: 1-line block ×5, first 2 shown]
	v_add_f32_e32 v68, v29, v67
	v_sub_f32_e32 v71, v30, v54
	v_sub_f32_e32 v72, v31, v53
	v_fmac_f32_e32 v41, 0x3e9e377a, v38
	v_fmac_f32_e32 v43, 0x3e9e377a, v38
	v_add_f32_e32 v38, v39, v31
	v_fma_f32 v30, -0.5, v44, v28
	v_fmac_f32_e32 v28, -0.5, v64
	v_fma_f32 v31, -0.5, v70, v29
	v_fmac_f32_e32 v29, -0.5, v78
	v_sub_f32_e32 v66, v53, v54
	v_sub_f32_e32 v74, v67, v69
	;; [unrolled: 1-line block ×5, first 2 shown]
	v_fmac_f32_e32 v40, 0x3e9e377a, v63
	v_fmac_f32_e32 v42, 0x3e9e377a, v63
	;; [unrolled: 1-line block ×4, first 2 shown]
	v_add_f32_e32 v63, v45, v46
	v_add_f32_e32 v39, v68, v69
	v_fmamk_f32 v44, v55, 0x3f737871, v30
	v_fmac_f32_e32 v30, 0xbf737871, v55
	v_fmamk_f32 v46, v56, 0xbf737871, v28
	v_fmac_f32_e32 v28, 0x3f737871, v56
	;; [unrolled: 2-line block ×4, first 2 shown]
	v_add_f32_e32 v64, v65, v66
	v_add_f32_e32 v65, v74, v77
	;; [unrolled: 1-line block ×5, first 2 shown]
	v_fmac_f32_e32 v44, 0x3f167918, v56
	v_fmac_f32_e32 v30, 0xbf167918, v56
	;; [unrolled: 1-line block ×10, first 2 shown]
	v_add_f32_e32 v38, v38, v54
	v_add_f32_e32 v39, v39, v76
	v_fmac_f32_e32 v44, 0x3e9e377a, v63
	v_fmac_f32_e32 v30, 0x3e9e377a, v63
	;; [unrolled: 1-line block ×8, first 2 shown]
	ds_write2_b64 v57, v[32:33], v[34:35] offset1:88
	ds_write2_b64 v62, v[40:41], v[42:43] offset0:48 offset1:136
	ds_write_b64 v57, v[36:37] offset:2816
	s_and_saveexec_b32 s1, s0
	s_cbranch_execz .LBB0_11
; %bb.10:
	v_add_nc_u32_e32 v53, 0x400, v57
	ds_write2_b64 v57, v[38:39], v[44:45] offset0:55 offset1:143
	ds_write2_b64 v53, v[46:47], v[28:29] offset0:103 offset1:191
	ds_write_b64 v57, v[30:31] offset:3256
.LBB0_11:
	s_or_b32 exec_lo, exec_lo, s1
	s_waitcnt lgkmcnt(0)
	s_barrier
	buffer_gl0_inv
	s_and_saveexec_b32 s2, vcc_lo
	s_cbranch_execz .LBB0_13
; %bb.12:
	s_add_u32 s8, s14, 0xdc0
	s_addc_u32 s9, s15, 0
	v_add_co_u32 v55, s1, s8, v57
	global_load_dwordx2 v[53:54], v57, s[8:9]
	v_add_co_ci_u32_e64 v56, null, s9, 0, s1
	v_add_co_u32 v55, s1, 0x800, v55
	s_clause 0x3
	global_load_dwordx2 v[78:79], v57, s[8:9] offset:320
	global_load_dwordx2 v[80:81], v57, s[8:9] offset:640
	;; [unrolled: 1-line block ×4, first 2 shown]
	v_add_co_ci_u32_e64 v56, s1, 0, v56, s1
	v_or_b32_e32 v62, 0xa00, v57
	s_clause 0x5
	global_load_dwordx2 v[86:87], v57, s[8:9] offset:1600
	global_load_dwordx2 v[88:89], v57, s[8:9] offset:1920
	global_load_dwordx2 v[90:91], v[55:56], off offset:192
	global_load_dwordx2 v[92:93], v62, s[8:9]
	global_load_dwordx2 v[94:95], v[55:56], off offset:832
	global_load_dwordx2 v[96:97], v[55:56], off offset:1152
	ds_read_b64 v[55:56], v57
	v_add_nc_u32_e32 v99, 0x800, v57
	s_waitcnt vmcnt(10) lgkmcnt(0)
	v_mul_f32_e32 v62, v56, v54
	v_mul_f32_e32 v63, v55, v54
	v_fma_f32 v62, v55, v53, -v62
	v_fmac_f32_e32 v63, v56, v53
	ds_write_b64 v57, v[62:63]
	ds_read2_b64 v[53:56], v57 offset0:40 offset1:80
	ds_read2_b64 v[62:65], v57 offset0:120 offset1:160
	;; [unrolled: 1-line block ×5, first 2 shown]
	s_waitcnt vmcnt(5) lgkmcnt(2)
	v_mul_f32_e32 v104, v67, v87
	v_mul_f32_e32 v100, v54, v79
	;; [unrolled: 1-line block ×10, first 2 shown]
	s_waitcnt vmcnt(4)
	v_mul_f32_e32 v105, v69, v89
	v_mul_f32_e32 v87, v68, v89
	s_waitcnt vmcnt(3) lgkmcnt(1)
	v_mul_f32_e32 v106, v71, v91
	v_mul_f32_e32 v89, v70, v91
	s_waitcnt vmcnt(2)
	v_mul_f32_e32 v107, v73, v93
	v_mul_f32_e32 v91, v72, v93
	s_waitcnt vmcnt(1) lgkmcnt(0)
	v_mul_f32_e32 v108, v75, v95
	v_mul_f32_e32 v93, v74, v95
	s_waitcnt vmcnt(0)
	v_mul_f32_e32 v109, v77, v97
	v_mul_f32_e32 v95, v76, v97
	v_fma_f32 v97, v53, v78, -v100
	v_fmac_f32_e32 v98, v54, v78
	v_fma_f32 v78, v55, v80, -v101
	v_fmac_f32_e32 v79, v56, v80
	;; [unrolled: 2-line block ×10, first 2 shown]
	ds_write2_b64 v57, v[97:98], v[78:79] offset0:40 offset1:80
	ds_write2_b64 v57, v[80:81], v[82:83] offset0:120 offset1:160
	;; [unrolled: 1-line block ×5, first 2 shown]
.LBB0_13:
	s_or_b32 exec_lo, exec_lo, s2
	s_waitcnt lgkmcnt(0)
	s_barrier
	buffer_gl0_inv
	s_and_saveexec_b32 s1, vcc_lo
	s_cbranch_execz .LBB0_15
; %bb.14:
	v_add_nc_u32_e32 v28, 0x400, v57
	v_add_nc_u32_e32 v29, 0x800, v57
	ds_read2_b64 v[32:35], v57 offset1:40
	ds_read2_b64 v[40:43], v57 offset0:80 offset1:120
	ds_read2_b64 v[36:39], v57 offset0:160 offset1:200
	;; [unrolled: 1-line block ×4, first 2 shown]
	ds_read_b64 v[49:50], v57 offset:3200
.LBB0_15:
	s_or_b32 exec_lo, exec_lo, s1
	s_waitcnt lgkmcnt(0)
	v_sub_f32_e32 v71, v35, v50
	v_add_f32_e32 v76, v50, v35
	v_add_f32_e32 v62, v49, v34
	v_sub_f32_e32 v64, v34, v49
	v_add_f32_e32 v77, v31, v41
	v_mul_f32_e32 v80, 0xbf68dda4, v71
	v_sub_f32_e32 v73, v41, v31
	v_mul_f32_e32 v84, 0x3ed4b147, v76
	v_add_f32_e32 v63, v30, v40
	v_mul_f32_e32 v89, 0xbf7d64f0, v71
	v_fma_f32 v53, 0x3ed4b147, v62, -v80
	v_mul_f32_e32 v91, 0xbe11bafb, v76
	v_mul_f32_e32 v79, 0xbf4178ce, v73
	v_fmamk_f32 v54, v64, 0xbf68dda4, v84
	v_sub_f32_e32 v65, v40, v30
	v_mul_f32_e32 v86, 0xbf27a4f4, v77
	v_add_f32_e32 v81, v29, v43
	v_fma_f32 v55, 0xbe11bafb, v62, -v89
	v_add_f32_e32 v53, v32, v53
	v_fmamk_f32 v56, v64, 0xbf7d64f0, v91
	v_fma_f32 v66, 0xbf27a4f4, v63, -v79
	v_add_f32_e32 v54, v33, v54
	v_fmamk_f32 v68, v65, 0xbf4178ce, v86
	v_sub_f32_e32 v74, v43, v29
	v_mul_f32_e32 v92, 0x3e903f40, v73
	v_mul_f32_e32 v96, 0xbf75a155, v77
	v_sub_f32_e32 v67, v42, v28
	v_mul_f32_e32 v90, 0xbf75a155, v81
	v_add_f32_e32 v55, v32, v55
	v_add_f32_e32 v56, v33, v56
	;; [unrolled: 1-line block ×4, first 2 shown]
	v_mul_f32_e32 v83, 0x3e903f40, v74
	v_fma_f32 v69, 0xbf75a155, v63, -v92
	v_fmamk_f32 v70, v65, 0x3e903f40, v96
	v_add_f32_e32 v54, v68, v54
	v_fmamk_f32 v68, v67, 0x3e903f40, v90
	v_mul_f32_e32 v94, 0x3f68dda4, v74
	v_sub_f32_e32 v75, v37, v47
	v_fma_f32 v72, 0xbf75a155, v66, -v83
	v_add_f32_e32 v55, v69, v55
	v_add_f32_e32 v56, v70, v56
	;; [unrolled: 1-line block ×4, first 2 shown]
	v_fma_f32 v70, 0x3ed4b147, v66, -v94
	v_add_f32_e32 v68, v46, v36
	v_mul_f32_e32 v87, 0x3f7d64f0, v75
	v_mul_f32_e32 v97, 0xbf0a6770, v75
	v_add_f32_e32 v53, v72, v53
	v_mul_f32_e32 v98, 0x3ed4b147, v81
	v_sub_f32_e32 v69, v36, v46
	v_mul_f32_e32 v93, 0xbe11bafb, v85
	v_fma_f32 v78, 0xbe11bafb, v68, -v87
	v_add_f32_e32 v55, v70, v55
	v_fma_f32 v82, 0x3f575c64, v68, -v97
	v_fmamk_f32 v72, v67, 0x3f68dda4, v98
	v_fmamk_f32 v70, v69, 0x3f7d64f0, v93
	v_add_f32_e32 v53, v78, v53
	v_mul_f32_e32 v100, 0x3f575c64, v85
	v_add_f32_e32 v55, v82, v55
	v_sub_f32_e32 v78, v39, v45
	v_add_f32_e32 v82, v45, v39
	v_add_f32_e32 v56, v72, v56
	;; [unrolled: 1-line block ×3, first 2 shown]
	v_fmamk_f32 v102, v69, 0xbf0a6770, v100
	v_add_f32_e32 v70, v44, v38
	v_sub_f32_e32 v72, v38, v44
	v_mul_f32_e32 v88, 0x3f0a6770, v78
	v_mul_f32_e32 v95, 0x3f575c64, v82
	;; [unrolled: 1-line block ×4, first 2 shown]
	v_add_f32_e32 v56, v102, v56
	v_fma_f32 v102, 0x3f575c64, v70, -v88
	v_fmamk_f32 v103, v72, 0x3f0a6770, v95
	v_fma_f32 v104, 0xbf27a4f4, v70, -v99
	v_fmamk_f32 v105, v72, 0xbf4178ce, v101
	v_add_f32_e32 v53, v102, v53
	v_add_f32_e32 v54, v103, v54
	v_add_f32_e32 v55, v104, v55
	v_add_f32_e32 v56, v105, v56
	s_barrier
	buffer_gl0_inv
	s_and_saveexec_b32 s1, vcc_lo
	s_cbranch_execz .LBB0_17
; %bb.16:
	v_mul_f32_e32 v102, 0xbe903f40, v64
	v_mul_f32_e32 v104, 0x3f0a6770, v65
	;; [unrolled: 1-line block ×5, first 2 shown]
	v_fmamk_f32 v103, v76, 0xbf75a155, v102
	v_fmamk_f32 v105, v77, 0x3f575c64, v104
	v_mul_f32_e32 v106, 0xbf68dda4, v64
	v_mul_f32_e32 v112, 0xbf75a155, v63
	;; [unrolled: 1-line block ×3, first 2 shown]
	v_add_f32_e32 v103, v33, v103
	v_fma_f32 v129, 0xbf75a155, v62, -v126
	v_mul_f32_e32 v130, 0x3f0a6770, v73
	v_add_f32_e32 v89, v109, v89
	v_mul_f32_e32 v111, 0xbf4178ce, v65
	v_add_f32_e32 v103, v105, v103
	v_fmamk_f32 v105, v81, 0xbf27a4f4, v123
	v_mul_f32_e32 v116, 0x3ed4b147, v66
	v_mul_f32_e32 v131, 0xbf7d64f0, v72
	v_add_f32_e32 v129, v32, v129
	v_fma_f32 v132, 0x3f575c64, v63, -v130
	v_add_f32_e32 v103, v105, v103
	v_fmamk_f32 v105, v85, 0x3ed4b147, v127
	v_mul_f32_e32 v133, 0xbf4178ce, v74
	v_add_f32_e32 v89, v32, v89
	v_add_f32_e32 v92, v112, v92
	v_sub_f32_e32 v84, v84, v106
	v_mul_f32_e32 v115, 0x3e903f40, v67
	v_mul_f32_e32 v120, 0x3f575c64, v68
	v_add_f32_e32 v103, v105, v103
	v_fmamk_f32 v105, v82, 0xbe11bafb, v131
	v_fma_f32 v102, 0xbf75a155, v76, -v102
	v_add_f32_e32 v129, v132, v129
	v_fma_f32 v132, 0xbf27a4f4, v66, -v133
	v_mul_f32_e32 v134, 0x3f68dda4, v75
	v_add_f32_e32 v89, v92, v89
	v_add_f32_e32 v92, v116, v94
	;; [unrolled: 1-line block ×3, first 2 shown]
	v_sub_f32_e32 v86, v86, v111
	v_mul_f32_e32 v108, 0x3ed4b147, v62
	v_mul_f32_e32 v119, 0x3f7d64f0, v69
	v_add_f32_e32 v103, v105, v103
	v_add_f32_e32 v102, v33, v102
	v_fma_f32 v104, 0x3f575c64, v77, -v104
	v_add_f32_e32 v105, v132, v129
	v_fma_f32 v129, 0x3ed4b147, v68, -v134
	v_mul_f32_e32 v132, 0xbf7d64f0, v78
	v_fmac_f32_e32 v126, 0xbf75a155, v62
	v_add_f32_e32 v89, v92, v89
	v_add_f32_e32 v92, v120, v97
	;; [unrolled: 1-line block ×3, first 2 shown]
	v_sub_f32_e32 v86, v90, v115
	v_mul_f32_e32 v110, 0xbf27a4f4, v63
	v_add_f32_e32 v102, v104, v102
	v_fma_f32 v104, 0xbf27a4f4, v81, -v123
	v_add_f32_e32 v105, v129, v105
	v_fma_f32 v123, 0xbe11bafb, v70, -v132
	v_add_f32_e32 v126, v32, v126
	v_fmac_f32_e32 v130, 0x3f575c64, v63
	v_add_f32_e32 v89, v92, v89
	v_add_f32_e32 v80, v108, v80
	;; [unrolled: 1-line block ×3, first 2 shown]
	v_sub_f32_e32 v86, v93, v119
	v_mul_f32_e32 v92, 0x3f575c64, v76
	v_mul_f32_e32 v114, 0xbf75a155, v66
	;; [unrolled: 1-line block ×3, first 2 shown]
	v_add_f32_e32 v104, v104, v102
	v_mul_f32_e32 v129, 0xbf27a4f4, v76
	v_add_f32_e32 v102, v123, v105
	v_add_f32_e32 v105, v130, v126
	v_fmac_f32_e32 v133, 0xbf27a4f4, v66
	v_add_f32_e32 v76, v32, v80
	v_add_f32_e32 v79, v110, v79
	;; [unrolled: 1-line block ×3, first 2 shown]
	v_fmamk_f32 v84, v64, 0x3f0a6770, v92
	v_mul_f32_e32 v86, 0x3ed4b147, v77
	v_add_f32_e32 v35, v35, v33
	v_mul_f32_e32 v126, 0xbe11bafb, v77
	v_add_f32_e32 v130, v133, v105
	v_mul_f32_e32 v133, 0x3f575c64, v81
	v_sub_f32_e32 v77, v95, v124
	v_add_f32_e32 v76, v79, v76
	v_add_f32_e32 v79, v114, v83
	;; [unrolled: 1-line block ×3, first 2 shown]
	v_fmamk_f32 v84, v65, 0x3f68dda4, v86
	v_mul_f32_e32 v81, 0xbe11bafb, v81
	v_add_f32_e32 v35, v41, v35
	v_add_f32_e32 v34, v34, v32
	v_fma_f32 v127, 0x3ed4b147, v85, -v127
	v_add_f32_e32 v77, v77, v80
	v_add_f32_e32 v80, v84, v83
	v_fmamk_f32 v83, v67, 0x3f7d64f0, v81
	v_mul_f32_e32 v84, 0xbf27a4f4, v85
	v_mul_f32_e32 v41, 0xbf0a6770, v71
	v_add_f32_e32 v35, v43, v35
	v_add_f32_e32 v34, v40, v34
	v_add_f32_e32 v104, v127, v104
	v_fma_f32 v127, 0xbe11bafb, v82, -v131
	v_mul_f32_e32 v135, 0x3f7d64f0, v73
	v_add_f32_e32 v80, v83, v80
	v_fmamk_f32 v83, v69, 0x3f4178ce, v84
	v_fmamk_f32 v40, v62, 0x3f575c64, v41
	v_mul_f32_e32 v43, 0xbf68dda4, v73
	v_mul_f32_e32 v73, 0xbf75a155, v82
	v_add_f32_e32 v35, v37, v35
	v_add_f32_e32 v34, v42, v34
	;; [unrolled: 1-line block ×3, first 2 shown]
	v_mul_f32_e32 v127, 0xbf4178ce, v71
	v_add_f32_e32 v71, v83, v80
	v_add_f32_e32 v37, v32, v40
	v_fmamk_f32 v40, v63, 0x3ed4b147, v43
	v_mul_f32_e32 v42, 0xbf7d64f0, v74
	v_add_f32_e32 v35, v39, v35
	v_add_f32_e32 v34, v36, v34
	v_fmamk_f32 v36, v72, 0x3e903f40, v73
	v_add_f32_e32 v37, v40, v37
	v_fmamk_f32 v39, v66, 0xbe11bafb, v42
	v_add_f32_e32 v40, v45, v35
	v_add_f32_e32 v34, v38, v34
	;; [unrolled: 1-line block ×3, first 2 shown]
	v_mul_f32_e32 v36, 0xbf4178ce, v75
	v_fmamk_f32 v123, v64, 0x3f4178ce, v129
	v_add_f32_e32 v37, v39, v37
	v_add_f32_e32 v38, v47, v40
	;; [unrolled: 1-line block ×3, first 2 shown]
	v_fmac_f32_e32 v129, 0xbf4178ce, v64
	v_fmamk_f32 v39, v68, 0xbf27a4f4, v36
	v_mul_f32_e32 v40, 0xbe903f40, v78
	v_mul_f32_e32 v107, 0xbf7d64f0, v64
	v_fmac_f32_e32 v134, 0x3ed4b147, v68
	v_fmamk_f32 v131, v65, 0xbf7d64f0, v126
	v_add_f32_e32 v29, v29, v38
	v_add_f32_e32 v34, v46, v34
	;; [unrolled: 1-line block ×3, first 2 shown]
	v_fmac_f32_e32 v126, 0x3f7d64f0, v65
	v_add_f32_e32 v37, v39, v37
	v_fmamk_f32 v39, v70, 0xbf75a155, v40
	v_mul_f32_e32 v113, 0x3e903f40, v65
	v_sub_f32_e32 v91, v91, v107
	v_add_f32_e32 v104, v134, v130
	v_fmamk_f32 v130, v67, 0x3f0a6770, v133
	v_fmac_f32_e32 v132, 0xbe11bafb, v70
	v_fmamk_f32 v134, v62, 0xbf27a4f4, v127
	v_add_f32_e32 v29, v31, v29
	v_add_f32_e32 v28, v28, v34
	;; [unrolled: 1-line block ×3, first 2 shown]
	v_fmac_f32_e32 v133, 0xbf0a6770, v67
	v_add_f32_e32 v34, v39, v37
	v_fma_f32 v37, 0xbf27a4f4, v62, -v127
	v_mul_f32_e32 v117, 0x3f68dda4, v67
	v_add_f32_e32 v91, v33, v91
	v_sub_f32_e32 v96, v96, v113
	v_add_f32_e32 v123, v33, v123
	v_add_f32_e32 v104, v132, v104
	;; [unrolled: 1-line block ×3, first 2 shown]
	v_fmamk_f32 v134, v63, 0xbe11bafb, v135
	v_mul_f32_e32 v136, 0xbf0a6770, v74
	v_add_f32_e32 v28, v30, v28
	v_add_f32_e32 v30, v133, v31
	;; [unrolled: 1-line block ×3, first 2 shown]
	v_fma_f32 v37, 0xbe11bafb, v63, -v135
	v_fmac_f32_e32 v92, 0xbf0a6770, v64
	v_fma_f32 v38, 0x3f575c64, v62, -v41
	v_mul_f32_e32 v121, 0xbf0a6770, v69
	v_add_f32_e32 v91, v96, v91
	v_sub_f32_e32 v96, v98, v117
	v_add_f32_e32 v123, v131, v123
	v_mul_f32_e32 v131, 0xbf75a155, v85
	v_add_f32_e32 v107, v134, v132
	v_mul_f32_e32 v134, 0xbe903f40, v75
	v_add_f32_e32 v31, v37, v31
	v_fma_f32 v37, 0x3f575c64, v66, -v136
	v_add_f32_e32 v33, v33, v92
	v_fmac_f32_e32 v86, 0xbf68dda4, v65
	v_add_f32_e32 v32, v32, v38
	v_fma_f32 v38, 0x3ed4b147, v63, -v43
	v_mul_f32_e32 v118, 0xbe11bafb, v68
	v_mul_f32_e32 v128, 0xbf4178ce, v72
	v_add_f32_e32 v91, v96, v91
	v_sub_f32_e32 v96, v100, v121
	v_add_f32_e32 v123, v130, v123
	v_fmamk_f32 v130, v69, 0x3e903f40, v131
	v_fmamk_f32 v132, v66, 0x3f575c64, v136
	v_add_f32_e32 v31, v37, v31
	v_fma_f32 v37, 0xbf75a155, v68, -v134
	v_add_f32_e32 v33, v86, v33
	v_fmac_f32_e32 v81, 0xbf7d64f0, v67
	v_add_f32_e32 v32, v38, v32
	v_fma_f32 v38, 0xbe11bafb, v66, -v42
	v_mul_f32_e32 v122, 0x3f575c64, v70
	v_mul_f32_e32 v125, 0xbf27a4f4, v70
	v_add_f32_e32 v91, v96, v91
	v_sub_f32_e32 v94, v101, v128
	v_add_f32_e32 v76, v79, v76
	v_add_f32_e32 v79, v118, v87
	;; [unrolled: 1-line block ×3, first 2 shown]
	v_mul_f32_e32 v130, 0x3ed4b147, v82
	v_add_f32_e32 v113, v132, v107
	v_fmamk_f32 v132, v68, 0xbf75a155, v134
	v_mul_f32_e32 v109, 0x3f68dda4, v78
	v_fmac_f32_e32 v131, 0xbe903f40, v69
	v_add_f32_e32 v37, v37, v31
	v_add_f32_e32 v31, v81, v33
	v_fmac_f32_e32 v84, 0xbf4178ce, v69
	v_add_f32_e32 v32, v38, v32
	v_fma_f32 v33, 0xbf27a4f4, v68, -v36
	v_mov_b32_e32 v38, 3
	v_add_f32_e32 v90, v94, v91
	v_add_f32_e32 v91, v125, v99
	v_add_f32_e32 v76, v79, v76
	v_add_f32_e32 v79, v122, v88
	v_fmamk_f32 v137, v72, 0xbf68dda4, v130
	v_add_f32_e32 v98, v132, v113
	v_fmamk_f32 v100, v70, 0x3ed4b147, v109
	v_add_f32_e32 v30, v131, v30
	v_fmac_f32_e32 v130, 0x3f68dda4, v72
	v_fma_f32 v36, 0x3ed4b147, v70, -v109
	v_add_f32_e32 v29, v50, v29
	v_add_f32_e32 v28, v49, v28
	;; [unrolled: 1-line block ×3, first 2 shown]
	v_fmac_f32_e32 v73, 0xbe903f40, v72
	v_add_f32_e32 v32, v33, v32
	v_fma_f32 v40, 0xbf75a155, v70, -v40
	v_lshlrev_b32_sdwa v38, v38, v60 dst_sel:DWORD dst_unused:UNUSED_PAD src0_sel:DWORD src1_sel:WORD_0
	v_add_f32_e32 v89, v91, v89
	v_add_f32_e32 v76, v79, v76
	v_add_f32_e32 v107, v137, v123
	v_add_f32_e32 v106, v100, v98
	v_add_f32_e32 v31, v130, v30
	v_add_f32_e32 v30, v36, v37
	v_add_f32_e32 v33, v73, v39
	v_add_f32_e32 v32, v40, v32
	ds_write2_b64 v38, v[28:29], v[34:35] offset1:1
	ds_write2_b64 v38, v[76:77], v[89:90] offset0:2 offset1:3
	ds_write2_b64 v38, v[106:107], v[104:105] offset0:4 offset1:5
	;; [unrolled: 1-line block ×4, first 2 shown]
	ds_write_b64 v38, v[32:33] offset:80
.LBB0_17:
	s_or_b32 exec_lo, exec_lo, s1
	s_waitcnt lgkmcnt(0)
	s_barrier
	buffer_gl0_inv
	ds_read2_b64 v[28:31], v57 offset1:55
	ds_read2_b64 v[35:38], v57 offset0:110 offset1:165
	v_add_nc_u32_e32 v34, 0x400, v57
	v_add_nc_u32_e32 v32, 0x800, v57
	ds_read2_b64 v[39:42], v34 offset0:92 offset1:147
	ds_read2_b64 v[43:46], v32 offset0:74 offset1:129
	s_waitcnt lgkmcnt(0)
	s_barrier
	buffer_gl0_inv
	v_mul_f32_e32 v32, v17, v31
	v_mul_f32_e32 v17, v17, v30
	;; [unrolled: 1-line block ×6, first 2 shown]
	v_fmac_f32_e32 v32, v16, v30
	v_fma_f32 v16, v16, v31, -v17
	v_fmac_f32_e32 v33, v18, v35
	v_fma_f32 v17, v18, v36, -v19
	;; [unrolled: 2-line block ×3, first 2 shown]
	v_mul_f32_e32 v13, v15, v40
	v_mul_f32_e32 v15, v15, v39
	;; [unrolled: 1-line block ×7, first 2 shown]
	v_fmac_f32_e32 v13, v14, v39
	v_fma_f32 v14, v14, v40, -v15
	v_fmac_f32_e32 v18, v8, v41
	v_fma_f32 v8, v8, v42, -v9
	v_fma_f32 v9, v10, v44, -v11
	v_mul_f32_e32 v31, v52, v45
	v_fmac_f32_e32 v19, v10, v43
	v_sub_f32_e32 v10, v28, v13
	v_fmac_f32_e32 v30, v51, v45
	v_sub_f32_e32 v13, v29, v14
	v_sub_f32_e32 v9, v17, v9
	v_fma_f32 v11, v51, v46, -v31
	v_sub_f32_e32 v14, v33, v19
	v_sub_f32_e32 v18, v32, v18
	v_fma_f32 v19, v29, 2.0, -v13
	v_fma_f32 v17, v17, 2.0, -v9
	v_sub_f32_e32 v30, v47, v30
	v_fma_f32 v15, v28, 2.0, -v10
	v_sub_f32_e32 v8, v16, v8
	v_fma_f32 v28, v33, 2.0, -v14
	v_fma_f32 v29, v32, 2.0, -v18
	v_sub_f32_e32 v11, v12, v11
	v_sub_f32_e32 v31, v19, v17
	v_fma_f32 v17, v47, 2.0, -v30
	v_fma_f32 v16, v16, 2.0, -v8
	v_sub_f32_e32 v28, v15, v28
	v_add_f32_e32 v32, v10, v9
	v_fma_f32 v9, v12, 2.0, -v11
	v_sub_f32_e32 v33, v13, v14
	v_sub_f32_e32 v35, v29, v17
	v_add_f32_e32 v36, v18, v11
	v_sub_f32_e32 v30, v8, v30
	v_fma_f32 v12, v15, 2.0, -v28
	v_fma_f32 v10, v10, 2.0, -v32
	v_sub_f32_e32 v11, v16, v9
	v_fma_f32 v37, v13, 2.0, -v33
	v_fma_f32 v9, v29, 2.0, -v35
	;; [unrolled: 1-line block ×6, first 2 shown]
	v_sub_f32_e32 v14, v12, v9
	v_fmamk_f32 v8, v13, 0xbf3504f3, v10
	v_fmamk_f32 v9, v17, 0xbf3504f3, v37
	v_sub_f32_e32 v15, v19, v15
	v_fma_f32 v16, v12, 2.0, -v14
	v_fmac_f32_e32 v8, 0x3f3504f3, v17
	v_fmac_f32_e32 v9, 0xbf3504f3, v13
	v_fmamk_f32 v12, v36, 0x3f3504f3, v32
	v_fmamk_f32 v13, v30, 0x3f3504f3, v33
	v_fma_f32 v17, v19, 2.0, -v15
	v_fma_f32 v18, v10, 2.0, -v8
	v_add_f32_e32 v10, v28, v11
	v_sub_f32_e32 v11, v31, v35
	v_fmac_f32_e32 v12, 0x3f3504f3, v30
	v_fmac_f32_e32 v13, 0xbf3504f3, v36
	v_fma_f32 v19, v37, 2.0, -v9
	v_fma_f32 v28, v28, 2.0, -v10
	;; [unrolled: 1-line block ×5, first 2 shown]
	ds_write2_b64 v61, v[16:17], v[18:19] offset1:11
	ds_write2_b64 v61, v[28:29], v[30:31] offset0:22 offset1:33
	ds_write2_b64 v61, v[14:15], v[8:9] offset0:44 offset1:55
	;; [unrolled: 1-line block ×3, first 2 shown]
	s_waitcnt lgkmcnt(0)
	s_barrier
	buffer_gl0_inv
	ds_read2_b64 v[16:19], v57 offset1:88
	ds_read2_b64 v[28:31], v34 offset0:48 offset1:136
	ds_read_b64 v[32:33], v57 offset:2816
	s_and_saveexec_b32 s1, s0
	s_cbranch_execz .LBB0_19
; %bb.18:
	ds_read2_b64 v[12:15], v34 offset0:103 offset1:191
	ds_read2_b64 v[8:11], v57 offset0:55 offset1:143
	ds_read_b64 v[53:54], v57 offset:3256
	s_waitcnt lgkmcnt(2)
	v_mov_b32_e32 v55, v14
	v_mov_b32_e32 v56, v15
.LBB0_19:
	s_or_b32 exec_lo, exec_lo, s1
	s_waitcnt lgkmcnt(1)
	v_mul_f32_e32 v35, v27, v29
	v_mul_f32_e32 v36, v21, v31
	;; [unrolled: 1-line block ×5, first 2 shown]
	v_fmac_f32_e32 v35, v26, v28
	v_fmac_f32_e32 v36, v20, v30
	s_waitcnt lgkmcnt(0)
	v_mul_f32_e32 v25, v23, v32
	v_fmac_f32_e32 v37, v24, v18
	v_fma_f32 v24, v24, v19, -v14
	v_mul_f32_e32 v19, v23, v33
	v_fma_f32 v26, v26, v29, -v15
	v_add_f32_e32 v14, v35, v36
	v_fma_f32 v25, v22, v33, -v25
	v_mul_f32_e32 v15, v21, v30
	v_fmac_f32_e32 v19, v22, v32
	v_add_f32_e32 v18, v16, v37
	v_fma_f32 v14, -0.5, v14, v16
	v_sub_f32_e32 v21, v24, v25
	v_fma_f32 v23, v20, v31, -v15
	v_add_f32_e32 v20, v37, v19
	v_add_f32_e32 v15, v18, v35
	v_sub_f32_e32 v22, v37, v35
	v_fmamk_f32 v18, v21, 0xbf737871, v14
	v_sub_f32_e32 v27, v26, v23
	v_sub_f32_e32 v28, v19, v36
	v_fmac_f32_e32 v14, 0x3f737871, v21
	v_fma_f32 v16, -0.5, v20, v16
	v_add_f32_e32 v15, v15, v36
	v_fmac_f32_e32 v18, 0xbf167918, v27
	v_add_f32_e32 v28, v22, v28
	v_fmac_f32_e32 v14, 0x3f167918, v27
	v_fmamk_f32 v20, v27, 0x3f737871, v16
	v_fmac_f32_e32 v16, 0xbf737871, v27
	v_add_f32_e32 v27, v17, v24
	v_add_f32_e32 v22, v15, v19
	v_fmac_f32_e32 v18, 0x3e9e377a, v28
	v_fmac_f32_e32 v14, 0x3e9e377a, v28
	v_add_f32_e32 v15, v26, v23
	v_sub_f32_e32 v28, v35, v37
	v_sub_f32_e32 v29, v36, v19
	v_fmac_f32_e32 v20, 0xbf167918, v21
	v_fmac_f32_e32 v16, 0x3f167918, v21
	v_add_f32_e32 v21, v27, v26
	v_add_f32_e32 v27, v24, v25
	v_fma_f32 v15, -0.5, v15, v17
	v_sub_f32_e32 v30, v37, v19
	v_add_f32_e32 v28, v28, v29
	v_sub_f32_e32 v29, v35, v36
	v_fma_f32 v17, -0.5, v27, v17
	v_sub_f32_e32 v31, v25, v23
	v_fmamk_f32 v19, v30, 0x3f737871, v15
	v_fmac_f32_e32 v20, 0x3e9e377a, v28
	v_fmac_f32_e32 v16, 0x3e9e377a, v28
	v_sub_f32_e32 v28, v24, v26
	v_add_f32_e32 v27, v21, v23
	v_fmamk_f32 v21, v29, 0xbf737871, v17
	v_sub_f32_e32 v24, v26, v24
	v_sub_f32_e32 v23, v23, v25
	v_fmac_f32_e32 v17, 0x3f737871, v29
	v_fmac_f32_e32 v15, 0xbf737871, v30
	;; [unrolled: 1-line block ×3, first 2 shown]
	v_add_f32_e32 v26, v28, v31
	v_fmac_f32_e32 v21, 0x3f167918, v30
	v_add_f32_e32 v24, v24, v23
	v_fmac_f32_e32 v17, 0xbf167918, v30
	v_fmac_f32_e32 v15, 0xbf167918, v29
	v_add_f32_e32 v23, v27, v25
	v_fmac_f32_e32 v19, 0x3e9e377a, v26
	v_fmac_f32_e32 v21, 0x3e9e377a, v24
	;; [unrolled: 1-line block ×4, first 2 shown]
	ds_write2_b64 v57, v[22:23], v[18:19] offset1:88
	ds_write2_b64 v34, v[20:21], v[16:17] offset0:48 offset1:136
	ds_write_b64 v57, v[14:15] offset:2816
	s_and_saveexec_b32 s1, s0
	s_cbranch_execz .LBB0_21
; %bb.20:
	v_mul_f32_e32 v14, v5, v10
	v_mul_f32_e32 v15, v7, v12
	;; [unrolled: 1-line block ×5, first 2 shown]
	v_fma_f32 v14, v4, v11, -v14
	v_fma_f32 v15, v6, v13, -v15
	v_mul_f32_e32 v11, v5, v11
	v_mul_f32_e32 v13, v7, v13
	;; [unrolled: 1-line block ×3, first 2 shown]
	v_fma_f32 v17, v0, v56, -v17
	v_fmac_f32_e32 v19, v0, v55
	v_fmac_f32_e32 v11, v4, v10
	v_fma_f32 v4, v2, v54, -v16
	v_fmac_f32_e32 v13, v6, v12
	v_fmac_f32_e32 v18, v2, v53
	v_sub_f32_e32 v0, v14, v15
	v_add_f32_e32 v22, v14, v9
	v_sub_f32_e32 v2, v4, v17
	v_add_f32_e32 v5, v13, v19
	;; [unrolled: 2-line block ×4, first 2 shown]
	v_fma_f32 v0, -0.5, v5, v8
	v_sub_f32_e32 v5, v11, v13
	v_sub_f32_e32 v21, v15, v17
	v_add_f32_e32 v7, v4, v14
	v_sub_f32_e32 v14, v15, v14
	v_fma_f32 v1, -0.5, v1, v9
	v_add_f32_e32 v24, v6, v5
	v_add_f32_e32 v6, v15, v22
	v_sub_f32_e32 v15, v17, v4
	v_sub_f32_e32 v12, v13, v19
	v_add_f32_e32 v23, v8, v11
	v_fmac_f32_e32 v9, -0.5, v7
	v_sub_f32_e32 v10, v11, v18
	v_add_f32_e32 v14, v15, v14
	v_add_f32_e32 v15, v18, v11
	;; [unrolled: 1-line block ×3, first 2 shown]
	v_fmamk_f32 v5, v12, 0x3f737871, v9
	v_add_f32_e32 v6, v17, v6
	v_fmac_f32_e32 v9, 0xbf737871, v12
	v_fmac_f32_e32 v8, -0.5, v15
	v_fmamk_f32 v3, v10, 0x3f737871, v1
	v_fmamk_f32 v2, v20, 0xbf737871, v0
	v_add_f32_e32 v17, v19, v7
	v_fmac_f32_e32 v5, 0xbf167918, v10
	v_add_f32_e32 v7, v4, v6
	v_fmac_f32_e32 v9, 0x3f167918, v10
	v_fmac_f32_e32 v1, 0xbf737871, v10
	v_sub_f32_e32 v10, v13, v11
	v_sub_f32_e32 v11, v19, v18
	v_fmamk_f32 v4, v21, 0xbf737871, v8
	v_fmac_f32_e32 v8, 0x3f737871, v21
	v_fmac_f32_e32 v0, 0x3f737871, v20
	;; [unrolled: 1-line block ×4, first 2 shown]
	v_add_f32_e32 v10, v11, v10
	v_fmac_f32_e32 v4, 0x3f167918, v20
	v_fmac_f32_e32 v8, 0xbf167918, v20
	;; [unrolled: 1-line block ×6, first 2 shown]
	v_add_f32_e32 v6, v18, v17
	v_fmac_f32_e32 v5, 0x3e9e377a, v14
	v_fmac_f32_e32 v9, 0x3e9e377a, v14
	;; [unrolled: 1-line block ×4, first 2 shown]
	v_add_nc_u32_e32 v10, 0x400, v57
	v_fmac_f32_e32 v1, 0x3e9e377a, v16
	v_fmac_f32_e32 v0, 0x3e9e377a, v24
	ds_write2_b64 v57, v[6:7], v[2:3] offset0:55 offset1:143
	ds_write2_b64 v10, v[8:9], v[4:5] offset0:103 offset1:191
	ds_write_b64 v57, v[0:1] offset:3256
.LBB0_21:
	s_or_b32 exec_lo, exec_lo, s1
	s_waitcnt lgkmcnt(0)
	s_barrier
	buffer_gl0_inv
	s_and_b32 exec_lo, exec_lo, vcc_lo
	s_cbranch_execz .LBB0_23
; %bb.22:
	v_lshlrev_b32_e32 v0, 3, v58
	s_clause 0x6
	global_load_dwordx2 v[20:21], v57, s[14:15]
	global_load_dwordx2 v[22:23], v57, s[14:15] offset:320
	global_load_dwordx2 v[24:25], v57, s[14:15] offset:640
	;; [unrolled: 1-line block ×6, first 2 shown]
	v_mad_u64_u32 v[2:3], null, s4, v59, 0
	s_mul_hi_u32 s1, s4, 0x140
	global_load_dwordx2 v[34:35], v0, s[14:15]
	v_add_co_u32 v0, s0, s14, v57
	v_add_co_ci_u32_e64 v1, null, s15, 0, s0
	s_mul_i32 s0, s5, 0x140
	v_add_co_u32 v0, vcc_lo, 0x800, v0
	v_add_co_ci_u32_e32 v1, vcc_lo, 0, v1, vcc_lo
	s_mul_i32 s2, s4, 0x140
	s_add_i32 s3, s1, s0
	s_clause 0x2
	global_load_dwordx2 v[36:37], v[0:1], off offset:192
	global_load_dwordx2 v[38:39], v[0:1], off offset:832
	;; [unrolled: 1-line block ×3, first 2 shown]
	v_mad_u64_u32 v[0:1], null, s6, v48, 0
	v_mad_u64_u32 v[54:55], null, s4, v58, 0
	ds_read_b64 v[50:51], v57
	v_add_nc_u32_e32 v16, 0x800, v57
	ds_read2_b64 v[8:11], v57 offset0:200 offset1:240
	s_mov_b32 s0, 0x29e4129e
	v_mad_u64_u32 v[4:5], null, s7, v48, v[1:2]
	s_mov_b32 s1, 0x3f629e41
	v_mad_u64_u32 v[5:6], null, s5, v59, v[3:4]
	v_mov_b32_e32 v1, v4
	v_mov_b32_e32 v4, v55
	v_lshlrev_b64 v[0:1], 3, v[0:1]
	v_mov_b32_e32 v3, v5
	v_mad_u64_u32 v[12:13], null, s5, v58, v[4:5]
	ds_read2_b64 v[4:7], v57 offset0:120 offset1:160
	v_lshlrev_b64 v[2:3], 3, v[2:3]
	v_add_co_u32 v67, vcc_lo, s12, v0
	v_add_co_ci_u32_e32 v68, vcc_lo, s13, v1, vcc_lo
	v_mov_b32_e32 v55, v12
	v_add_co_u32 v42, vcc_lo, v67, v2
	v_add_co_ci_u32_e32 v43, vcc_lo, v68, v3, vcc_lo
	ds_read2_b64 v[0:3], v57 offset0:40 offset1:80
	v_add_co_u32 v44, vcc_lo, v42, s2
	v_add_co_ci_u32_e32 v45, vcc_lo, s3, v43, vcc_lo
	ds_read2_b64 v[12:15], v16 offset0:24 offset1:64
	ds_read2_b64 v[16:19], v16 offset0:104 offset1:144
	v_add_co_u32 v46, vcc_lo, v44, s2
	v_add_co_ci_u32_e32 v47, vcc_lo, s3, v45, vcc_lo
	v_lshlrev_b64 v[54:55], 3, v[54:55]
	v_add_co_u32 v48, vcc_lo, v46, s2
	v_add_co_ci_u32_e32 v49, vcc_lo, s3, v47, vcc_lo
	v_add_co_u32 v52, vcc_lo, v48, s2
	v_add_co_ci_u32_e32 v53, vcc_lo, s3, v49, vcc_lo
	;; [unrolled: 2-line block ×5, first 2 shown]
	v_mad_u64_u32 v[65:66], null, 0x280, s4, v[63:64]
	v_mov_b32_e32 v56, v66
	v_mad_u64_u32 v[56:57], null, 0x280, s5, v[56:57]
	s_waitcnt vmcnt(10) lgkmcnt(5)
	v_mul_f32_e32 v57, v51, v21
	v_mul_f32_e32 v21, v50, v21
	s_waitcnt vmcnt(9) lgkmcnt(2)
	v_mul_f32_e32 v58, v1, v23
	v_mul_f32_e32 v23, v0, v23
	s_waitcnt vmcnt(8)
	v_mul_f32_e32 v66, v3, v25
	v_mul_f32_e32 v25, v2, v25
	v_fmac_f32_e32 v57, v50, v20
	s_waitcnt vmcnt(7)
	v_mul_f32_e32 v69, v5, v27
	v_mul_f32_e32 v27, v4, v27
	s_waitcnt vmcnt(6)
	v_mul_f32_e32 v70, v7, v29
	v_mul_f32_e32 v29, v6, v29
	s_waitcnt vmcnt(3) lgkmcnt(1)
	v_mul_f32_e32 v73, v15, v35
	v_mul_f32_e32 v35, v14, v35
	;; [unrolled: 1-line block ×4, first 2 shown]
	v_fma_f32 v20, v20, v51, -v21
	v_mul_f32_e32 v72, v11, v33
	v_mul_f32_e32 v33, v10, v33
	v_fmac_f32_e32 v58, v0, v22
	v_fma_f32 v21, v22, v1, -v23
	v_fmac_f32_e32 v66, v2, v24
	v_fma_f32 v22, v24, v3, -v25
	v_cvt_f64_f32_e32 v[0:1], v57
	s_waitcnt vmcnt(2)
	v_mul_f32_e32 v57, v13, v37
	v_mul_f32_e32 v37, v12, v37
	v_fmac_f32_e32 v69, v4, v26
	v_fma_f32 v23, v26, v5, -v27
	v_fmac_f32_e32 v70, v6, v28
	v_fma_f32 v26, v28, v7, -v29
	;; [unrolled: 2-line block ×3, first 2 shown]
	s_waitcnt vmcnt(1) lgkmcnt(0)
	v_mul_f32_e32 v34, v17, v39
	v_mul_f32_e32 v35, v16, v39
	v_fmac_f32_e32 v71, v8, v30
	v_fma_f32 v30, v30, v9, -v31
	v_cvt_f64_f32_e32 v[2:3], v20
	s_waitcnt vmcnt(0)
	v_mul_f32_e32 v39, v19, v41
	v_mul_f32_e32 v41, v18, v41
	v_fmac_f32_e32 v72, v10, v32
	v_fma_f32 v50, v32, v11, -v33
	v_cvt_f64_f32_e32 v[4:5], v58
	v_cvt_f64_f32_e32 v[6:7], v21
	v_cvt_f64_f32_e32 v[8:9], v66
	v_cvt_f64_f32_e32 v[10:11], v22
	v_fmac_f32_e32 v57, v12, v36
	v_fma_f32 v36, v36, v13, -v37
	v_cvt_f64_f32_e32 v[20:21], v69
	v_cvt_f64_f32_e32 v[22:23], v23
	;; [unrolled: 1-line block ×4, first 2 shown]
	v_fmac_f32_e32 v34, v16, v38
	v_fma_f32 v37, v38, v17, -v35
	v_cvt_f64_f32_e32 v[28:29], v71
	v_cvt_f64_f32_e32 v[30:31], v30
	v_fmac_f32_e32 v39, v18, v40
	v_fma_f32 v40, v40, v19, -v41
	v_cvt_f64_f32_e32 v[32:33], v72
	v_cvt_f64_f32_e32 v[50:51], v50
	;; [unrolled: 1-line block ×10, first 2 shown]
	v_mul_f64 v[0:1], v[0:1], s[0:1]
	v_mul_f64 v[2:3], v[2:3], s[0:1]
	;; [unrolled: 1-line block ×22, first 2 shown]
	v_cvt_f32_f64_e32 v0, v[0:1]
	v_cvt_f32_f64_e32 v1, v[2:3]
	v_cvt_f32_f64_e32 v2, v[4:5]
	v_cvt_f32_f64_e32 v3, v[6:7]
	v_cvt_f32_f64_e32 v4, v[8:9]
	v_cvt_f32_f64_e32 v5, v[10:11]
	v_cvt_f32_f64_e32 v6, v[20:21]
	v_cvt_f32_f64_e32 v7, v[22:23]
	v_cvt_f32_f64_e32 v8, v[24:25]
	v_cvt_f32_f64_e32 v9, v[26:27]
	v_cvt_f32_f64_e32 v10, v[28:29]
	v_cvt_f32_f64_e32 v11, v[30:31]
	v_cvt_f32_f64_e32 v20, v[32:33]
	v_cvt_f32_f64_e32 v21, v[50:51]
	v_cvt_f32_f64_e32 v12, v[12:13]
	v_cvt_f32_f64_e32 v13, v[14:15]
	v_cvt_f32_f64_e32 v14, v[16:17]
	v_cvt_f32_f64_e32 v15, v[18:19]
	v_cvt_f32_f64_e32 v16, v[34:35]
	v_cvt_f32_f64_e32 v17, v[36:37]
	v_cvt_f32_f64_e32 v18, v[38:39]
	v_cvt_f32_f64_e32 v19, v[40:41]
	v_mov_b32_e32 v66, v56
	v_add_co_u32 v22, vcc_lo, v67, v54
	v_add_co_ci_u32_e32 v23, vcc_lo, v68, v55, vcc_lo
	v_add_co_u32 v24, vcc_lo, v65, s2
	v_add_co_ci_u32_e32 v25, vcc_lo, s3, v66, vcc_lo
	global_store_dwordx2 v[42:43], v[0:1], off
	global_store_dwordx2 v[44:45], v[2:3], off
	;; [unrolled: 1-line block ×11, first 2 shown]
.LBB0_23:
	s_endpgm
	.section	.rodata,"a",@progbits
	.p2align	6, 0x0
	.amdhsa_kernel bluestein_single_fwd_len440_dim1_sp_op_CI_CI
		.amdhsa_group_segment_fixed_size 3520
		.amdhsa_private_segment_fixed_size 0
		.amdhsa_kernarg_size 104
		.amdhsa_user_sgpr_count 6
		.amdhsa_user_sgpr_private_segment_buffer 1
		.amdhsa_user_sgpr_dispatch_ptr 0
		.amdhsa_user_sgpr_queue_ptr 0
		.amdhsa_user_sgpr_kernarg_segment_ptr 1
		.amdhsa_user_sgpr_dispatch_id 0
		.amdhsa_user_sgpr_flat_scratch_init 0
		.amdhsa_user_sgpr_private_segment_size 0
		.amdhsa_wavefront_size32 1
		.amdhsa_uses_dynamic_stack 0
		.amdhsa_system_sgpr_private_segment_wavefront_offset 0
		.amdhsa_system_sgpr_workgroup_id_x 1
		.amdhsa_system_sgpr_workgroup_id_y 0
		.amdhsa_system_sgpr_workgroup_id_z 0
		.amdhsa_system_sgpr_workgroup_info 0
		.amdhsa_system_vgpr_workitem_id 0
		.amdhsa_next_free_vgpr 138
		.amdhsa_next_free_sgpr 16
		.amdhsa_reserve_vcc 1
		.amdhsa_reserve_flat_scratch 0
		.amdhsa_float_round_mode_32 0
		.amdhsa_float_round_mode_16_64 0
		.amdhsa_float_denorm_mode_32 3
		.amdhsa_float_denorm_mode_16_64 3
		.amdhsa_dx10_clamp 1
		.amdhsa_ieee_mode 1
		.amdhsa_fp16_overflow 0
		.amdhsa_workgroup_processor_mode 1
		.amdhsa_memory_ordered 1
		.amdhsa_forward_progress 0
		.amdhsa_shared_vgpr_count 0
		.amdhsa_exception_fp_ieee_invalid_op 0
		.amdhsa_exception_fp_denorm_src 0
		.amdhsa_exception_fp_ieee_div_zero 0
		.amdhsa_exception_fp_ieee_overflow 0
		.amdhsa_exception_fp_ieee_underflow 0
		.amdhsa_exception_fp_ieee_inexact 0
		.amdhsa_exception_int_div_zero 0
	.end_amdhsa_kernel
	.text
.Lfunc_end0:
	.size	bluestein_single_fwd_len440_dim1_sp_op_CI_CI, .Lfunc_end0-bluestein_single_fwd_len440_dim1_sp_op_CI_CI
                                        ; -- End function
	.section	.AMDGPU.csdata,"",@progbits
; Kernel info:
; codeLenInByte = 10580
; NumSgprs: 18
; NumVgprs: 138
; ScratchSize: 0
; MemoryBound: 0
; FloatMode: 240
; IeeeMode: 1
; LDSByteSize: 3520 bytes/workgroup (compile time only)
; SGPRBlocks: 2
; VGPRBlocks: 17
; NumSGPRsForWavesPerEU: 18
; NumVGPRsForWavesPerEU: 138
; Occupancy: 7
; WaveLimiterHint : 1
; COMPUTE_PGM_RSRC2:SCRATCH_EN: 0
; COMPUTE_PGM_RSRC2:USER_SGPR: 6
; COMPUTE_PGM_RSRC2:TRAP_HANDLER: 0
; COMPUTE_PGM_RSRC2:TGID_X_EN: 1
; COMPUTE_PGM_RSRC2:TGID_Y_EN: 0
; COMPUTE_PGM_RSRC2:TGID_Z_EN: 0
; COMPUTE_PGM_RSRC2:TIDIG_COMP_CNT: 0
	.text
	.p2alignl 6, 3214868480
	.fill 48, 4, 3214868480
	.type	__hip_cuid_c237eac6fe214379,@object ; @__hip_cuid_c237eac6fe214379
	.section	.bss,"aw",@nobits
	.globl	__hip_cuid_c237eac6fe214379
__hip_cuid_c237eac6fe214379:
	.byte	0                               ; 0x0
	.size	__hip_cuid_c237eac6fe214379, 1

	.ident	"AMD clang version 19.0.0git (https://github.com/RadeonOpenCompute/llvm-project roc-6.4.0 25133 c7fe45cf4b819c5991fe208aaa96edf142730f1d)"
	.section	".note.GNU-stack","",@progbits
	.addrsig
	.addrsig_sym __hip_cuid_c237eac6fe214379
	.amdgpu_metadata
---
amdhsa.kernels:
  - .args:
      - .actual_access:  read_only
        .address_space:  global
        .offset:         0
        .size:           8
        .value_kind:     global_buffer
      - .actual_access:  read_only
        .address_space:  global
        .offset:         8
        .size:           8
        .value_kind:     global_buffer
      - .actual_access:  read_only
        .address_space:  global
        .offset:         16
        .size:           8
        .value_kind:     global_buffer
      - .actual_access:  read_only
        .address_space:  global
        .offset:         24
        .size:           8
        .value_kind:     global_buffer
      - .actual_access:  read_only
        .address_space:  global
        .offset:         32
        .size:           8
        .value_kind:     global_buffer
      - .offset:         40
        .size:           8
        .value_kind:     by_value
      - .address_space:  global
        .offset:         48
        .size:           8
        .value_kind:     global_buffer
      - .address_space:  global
        .offset:         56
        .size:           8
        .value_kind:     global_buffer
      - .address_space:  global
        .offset:         64
        .size:           8
        .value_kind:     global_buffer
      - .address_space:  global
        .offset:         72
        .size:           8
        .value_kind:     global_buffer
      - .offset:         80
        .size:           4
        .value_kind:     by_value
      - .address_space:  global
        .offset:         88
        .size:           8
        .value_kind:     global_buffer
      - .address_space:  global
        .offset:         96
        .size:           8
        .value_kind:     global_buffer
    .group_segment_fixed_size: 3520
    .kernarg_segment_align: 8
    .kernarg_segment_size: 104
    .language:       OpenCL C
    .language_version:
      - 2
      - 0
    .max_flat_workgroup_size: 55
    .name:           bluestein_single_fwd_len440_dim1_sp_op_CI_CI
    .private_segment_fixed_size: 0
    .sgpr_count:     18
    .sgpr_spill_count: 0
    .symbol:         bluestein_single_fwd_len440_dim1_sp_op_CI_CI.kd
    .uniform_work_group_size: 1
    .uses_dynamic_stack: false
    .vgpr_count:     138
    .vgpr_spill_count: 0
    .wavefront_size: 32
    .workgroup_processor_mode: 1
amdhsa.target:   amdgcn-amd-amdhsa--gfx1030
amdhsa.version:
  - 1
  - 2
...

	.end_amdgpu_metadata
